;; amdgpu-corpus repo=ROCm/rocFFT kind=compiled arch=gfx906 opt=O3
	.text
	.amdgcn_target "amdgcn-amd-amdhsa--gfx906"
	.amdhsa_code_object_version 6
	.protected	bluestein_single_back_len1250_dim1_half_op_CI_CI ; -- Begin function bluestein_single_back_len1250_dim1_half_op_CI_CI
	.globl	bluestein_single_back_len1250_dim1_half_op_CI_CI
	.p2align	8
	.type	bluestein_single_back_len1250_dim1_half_op_CI_CI,@function
bluestein_single_back_len1250_dim1_half_op_CI_CI: ; @bluestein_single_back_len1250_dim1_half_op_CI_CI
; %bb.0:
	s_load_dwordx4 s[8:11], s[4:5], 0x28
	v_mul_u32_u24_e32 v1, 0x107, v0
	v_add_u32_sdwa v16, s6, v1 dst_sel:DWORD dst_unused:UNUSED_PAD src0_sel:DWORD src1_sel:WORD_1
	v_mov_b32_e32 v17, 0
	s_waitcnt lgkmcnt(0)
	v_cmp_gt_u64_e32 vcc, s[8:9], v[16:17]
	s_and_saveexec_b64 s[0:1], vcc
	s_cbranch_execz .LBB0_10
; %bb.1:
	s_load_dwordx4 s[0:3], s[4:5], 0x18
	s_load_dwordx4 s[12:15], s[4:5], 0x0
	s_movk_i32 s6, 0x3b9c
	s_movk_i32 s7, 0x38b4
                                        ; implicit-def: $vgpr21
                                        ; implicit-def: $vgpr22
                                        ; implicit-def: $vgpr23
                                        ; implicit-def: $vgpr24
                                        ; implicit-def: $vgpr25
                                        ; implicit-def: $vgpr14
                                        ; implicit-def: $vgpr17
	s_waitcnt lgkmcnt(0)
	s_load_dwordx4 s[16:19], s[0:1], 0x0
	s_movk_i32 s0, 0xfa
	v_mul_lo_u16_sdwa v1, v1, s0 dst_sel:DWORD dst_unused:UNUSED_PAD src0_sel:WORD_1 src1_sel:DWORD
	v_sub_u16_e32 v32, v0, v1
	v_lshlrev_b32_e32 v27, 2, v32
	s_waitcnt lgkmcnt(0)
	v_mad_u64_u32 v[0:1], s[0:1], s18, v16, 0
	v_mad_u64_u32 v[2:3], s[0:1], s16, v32, 0
	v_add_u32_e32 v7, 0x7c0, v27
	v_mad_u64_u32 v[4:5], s[0:1], s19, v16, v[1:2]
	v_mad_u64_u32 v[5:6], s[0:1], s17, v32, v[3:4]
	v_mov_b32_e32 v1, v4
	v_lshlrev_b64 v[0:1], 2, v[0:1]
	v_mov_b32_e32 v6, s11
	v_mov_b32_e32 v3, v5
	v_add_co_u32_e32 v4, vcc, s10, v0
	v_addc_co_u32_e32 v5, vcc, v6, v1, vcc
	v_lshlrev_b64 v[0:1], 2, v[2:3]
	s_mul_i32 s0, s17, 0x3e8
	v_add_co_u32_e32 v0, vcc, v4, v0
	s_mul_hi_u32 s1, s16, 0x3e8
	v_addc_co_u32_e32 v1, vcc, v5, v1, vcc
	s_add_i32 s0, s1, s0
	s_mul_i32 s1, s16, 0x3e8
	v_mov_b32_e32 v3, s0
	v_add_co_u32_e32 v2, vcc, s1, v0
	v_addc_co_u32_e32 v3, vcc, v1, v3, vcc
	global_load_dword v4, v[0:1], off
	global_load_dword v5, v[2:3], off
	global_load_dword v33, v27, s[12:13]
	global_load_dword v31, v27, s[12:13] offset:1000
	v_mov_b32_e32 v1, s0
	v_add_co_u32_e32 v0, vcc, s1, v2
	v_addc_co_u32_e32 v1, vcc, v3, v1, vcc
	global_load_dword v2, v[0:1], off
	global_load_dword v30, v27, s[12:13] offset:2000
	v_mov_b32_e32 v3, s0
	v_add_co_u32_e32 v0, vcc, s1, v0
	v_addc_co_u32_e32 v1, vcc, v1, v3, vcc
	global_load_dword v3, v[0:1], off
	;; [unrolled: 5-line block ×3, first 2 shown]
	global_load_dword v28, v27, s[12:13] offset:4000
	s_load_dwordx4 s[8:11], s[2:3], 0x0
	s_movk_i32 s16, 0x34f2
	s_load_dwordx2 s[2:3], s[4:5], 0x38
	s_mov_b32 s0, 0xffff
	s_waitcnt vmcnt(9)
	v_lshrrev_b32_e32 v0, 16, v4
	s_waitcnt vmcnt(7)
	v_mul_f16_sdwa v1, v33, v4 dst_sel:DWORD dst_unused:UNUSED_PAD src0_sel:WORD_1 src1_sel:DWORD
	v_mul_f16_sdwa v8, v33, v0 dst_sel:DWORD dst_unused:UNUSED_PAD src0_sel:WORD_1 src1_sel:DWORD
	v_fma_f16 v0, v33, v0, -v1
	v_lshrrev_b32_e32 v1, 16, v5
	s_waitcnt vmcnt(6)
	v_mul_f16_sdwa v9, v31, v5 dst_sel:DWORD dst_unused:UNUSED_PAD src0_sel:WORD_1 src1_sel:DWORD
	v_fma_f16 v4, v33, v4, v8
	v_mul_f16_sdwa v8, v31, v1 dst_sel:DWORD dst_unused:UNUSED_PAD src0_sel:WORD_1 src1_sel:DWORD
	v_fma_f16 v1, v31, v1, -v9
	s_waitcnt vmcnt(5)
	v_lshrrev_b32_e32 v9, 16, v2
	s_waitcnt vmcnt(4)
	v_mul_f16_sdwa v10, v30, v2 dst_sel:DWORD dst_unused:UNUSED_PAD src0_sel:WORD_1 src1_sel:DWORD
	v_pack_b32_f16 v0, v4, v0
	v_fma_f16 v4, v31, v5, v8
	v_mul_f16_sdwa v5, v30, v9 dst_sel:DWORD dst_unused:UNUSED_PAD src0_sel:WORD_1 src1_sel:DWORD
	v_fma_f16 v8, v30, v9, -v10
	s_waitcnt vmcnt(3)
	v_lshrrev_b32_e32 v9, 16, v3
	s_waitcnt vmcnt(2)
	v_mul_f16_sdwa v10, v29, v3 dst_sel:DWORD dst_unused:UNUSED_PAD src0_sel:WORD_1 src1_sel:DWORD
	v_pack_b32_f16 v1, v4, v1
	v_fma_f16 v2, v30, v2, v5
	v_mul_f16_sdwa v4, v29, v9 dst_sel:DWORD dst_unused:UNUSED_PAD src0_sel:WORD_1 src1_sel:DWORD
	v_fma_f16 v5, v29, v9, -v10
	s_waitcnt vmcnt(1)
	v_lshrrev_b32_e32 v9, 16, v6
	s_waitcnt vmcnt(0)
	v_mul_f16_sdwa v10, v28, v6 dst_sel:DWORD dst_unused:UNUSED_PAD src0_sel:WORD_1 src1_sel:DWORD
	ds_write2_b32 v27, v0, v1 offset1:250
	v_pack_b32_f16 v0, v2, v8
	v_fma_f16 v1, v29, v3, v4
	v_mul_f16_sdwa v2, v28, v9 dst_sel:DWORD dst_unused:UNUSED_PAD src0_sel:WORD_1 src1_sel:DWORD
	v_fma_f16 v3, v28, v9, -v10
	v_pack_b32_f16 v1, v1, v5
	v_fma_f16 v2, v28, v6, v2
	ds_write2_b32 v7, v0, v1 offset0:4 offset1:254
	v_pack_b32_f16 v0, v2, v3
	ds_write_b32 v27, v0 offset:4000
	s_waitcnt lgkmcnt(0)
	s_barrier
	ds_read2_b32 v[0:1], v27 offset1:250
	ds_read_b32 v4, v27 offset:4000
	ds_read2_b32 v[2:3], v7 offset0:4 offset1:254
	s_waitcnt lgkmcnt(0)
	s_barrier
	v_pk_add_f16 v5, v0, v1
	v_pk_add_f16 v6, v1, v4 neg_lo:[0,1] neg_hi:[0,1]
	v_pk_add_f16 v7, v2, v3 neg_lo:[0,1] neg_hi:[0,1]
	v_pk_add_f16 v8, v1, v4
	v_pk_add_f16 v9, v2, v1 neg_lo:[0,1] neg_hi:[0,1]
	v_pk_add_f16 v10, v2, v3
	;; [unrolled: 2-line block ×3, first 2 shown]
	v_pk_add_f16 v11, v3, v4 neg_lo:[0,1] neg_hi:[0,1]
	v_pk_fma_f16 v13, v8, 0.5, v0 op_sel_hi:[1,0,1] neg_lo:[1,0,0] neg_hi:[1,0,0]
	v_pk_add_f16 v2, v2, v3
	v_pk_add_f16 v12, v4, v3 neg_lo:[0,1] neg_hi:[0,1]
	v_pk_add_f16 v8, v2, v4
	v_pk_fma_f16 v2, v7, s6, v13 op_sel:[0,0,1] op_sel_hi:[1,0,0] neg_lo:[1,0,0] neg_hi:[1,0,0]
	v_pk_add_f16 v3, v9, v11
	v_pk_fma_f16 v2, v6, s7, v2 op_sel_hi:[1,0,1]
	v_pk_mul_f16 v3, v3, s16 op_sel_hi:[1,0]
	v_pk_fma_f16 v0, v10, 0.5, v0 op_sel_hi:[1,0,1] neg_lo:[1,0,0] neg_hi:[1,0,0]
	v_pk_add_f16 v19, v3, v2 op_sel:[1,0] op_sel_hi:[0,1]
	v_pk_mul_f16 v2, v6, s6 op_sel_hi:[1,0]
	v_pk_add_f16 v4, v0, v2 op_sel:[0,1] op_sel_hi:[1,0] neg_lo:[0,1] neg_hi:[0,1]
	v_pk_add_f16 v0, v0, v2 op_sel:[0,1] op_sel_hi:[1,0]
	v_pk_mul_f16 v2, v7, s7 op_sel_hi:[1,0]
	v_pk_add_f16 v4, v4, v2 op_sel:[0,1] op_sel_hi:[1,0] neg_lo:[0,1] neg_hi:[0,1]
	v_pk_add_f16 v0, v0, v2 op_sel:[0,1] op_sel_hi:[1,0]
	v_pk_add_f16 v1, v1, v12
	v_bfi_b32 v2, s0, v4, v0
	v_pk_fma_f16 v5, v7, s6, v13 op_sel:[0,0,1] op_sel_hi:[1,0,0]
	v_pk_fma_f16 v10, v1, s16, v2 op_sel_hi:[1,0,1]
	v_pk_fma_f16 v2, v6, s7, v5 op_sel_hi:[1,0,1] neg_lo:[1,0,0] neg_hi:[1,0,0]
	v_bfi_b32 v0, s0, v0, v4
	v_pk_add_f16 v13, v3, v2 op_sel:[1,0] op_sel_hi:[0,1]
	v_mul_lo_u16_e32 v2, 5, v32
	v_pk_fma_f16 v9, v1, s16, v0 op_sel_hi:[1,0,1]
	s_movk_i32 s0, 0x7d
	v_lshlrev_b32_e32 v26, 2, v2
	v_lshrrev_b32_e32 v20, 16, v9
	v_alignbit_b32 v0, v19, v13, 16
	v_alignbit_b32 v1, v13, v19, 16
	v_cmp_gt_u16_e32 vcc, s0, v32
	v_lshrrev_b32_e32 v12, 16, v19
	ds_write2_b32 v26, v8, v9 offset1:1
	ds_write2_b32 v26, v1, v0 offset0:2 offset1:3
	ds_write_b32 v26, v10 offset:16
	s_waitcnt lgkmcnt(0)
	s_barrier
	s_and_saveexec_b64 s[0:1], vcc
	s_cbranch_execz .LBB0_3
; %bb.2:
	v_add_u32_e32 v0, 0x200, v27
	ds_read2_b32 v[8:9], v27 offset1:125
	v_add_u32_e32 v1, 0x600, v27
	ds_read2_b32 v[12:13], v0 offset0:122 offset1:247
	ds_read2_b32 v[10:11], v1 offset0:116 offset1:241
	v_add_u32_e32 v0, 0xa00, v27
	ds_read2_b32 v[14:15], v0 offset0:110 offset1:235
	v_add_u32_e32 v0, 0xe00, v27
	ds_read2_b32 v[17:18], v0 offset0:104 offset1:229
	s_waitcnt lgkmcnt(4)
	v_lshrrev_b32_e32 v20, 16, v9
	s_waitcnt lgkmcnt(3)
	v_lshrrev_b32_e32 v19, 16, v13
	;; [unrolled: 2-line block ×4, first 2 shown]
	v_lshrrev_b32_e32 v23, 16, v15
	s_waitcnt lgkmcnt(0)
	v_lshrrev_b32_e32 v24, 16, v17
	v_lshrrev_b32_e32 v25, 16, v18
	v_alignbit_b32 v13, v13, v12, 16
.LBB0_3:
	s_or_b64 exec, exec, s[0:1]
	s_movk_i32 s0, 0xcd
	v_mul_lo_u16_sdwa v0, v32, s0 dst_sel:DWORD dst_unused:UNUSED_PAD src0_sel:BYTE_0 src1_sel:DWORD
	v_lshrrev_b16_e32 v38, 10, v0
	v_mul_lo_u16_e32 v0, 5, v38
	v_sub_u16_e32 v0, v32, v0
	v_and_b32_e32 v34, 0xff, v0
	v_mad_u64_u32 v[36:37], s[0:1], v34, 36, s[14:15]
	v_lshrrev_b32_e32 v39, 16, v8
	s_mov_b32 s4, 0xbb9c
	global_load_dwordx4 v[0:3], v[36:37], off
	global_load_dwordx4 v[4:7], v[36:37], off offset:16
	global_load_dword v35, v[36:37], off offset:32
	v_lshrrev_b32_e32 v36, 16, v10
	v_lshrrev_b32_e32 v37, 16, v13
	s_mov_b32 s5, 0xb8b4
	s_movk_i32 s0, 0x3a79
	s_waitcnt vmcnt(0)
	s_barrier
	v_mul_f16_sdwa v40, v13, v1 dst_sel:DWORD dst_unused:UNUSED_PAD src0_sel:DWORD src1_sel:WORD_1
	v_mul_f16_sdwa v41, v12, v1 dst_sel:DWORD dst_unused:UNUSED_PAD src0_sel:DWORD src1_sel:WORD_1
	;; [unrolled: 1-line block ×16, first 2 shown]
	v_fma_f16 v12, v12, v1, -v40
	v_fma_f16 v10, v10, v3, -v42
	;; [unrolled: 1-line block ×6, first 2 shown]
	v_fma_f16 v15, v13, v1, v41
	v_mul_f16_sdwa v53, v18, v35 dst_sel:DWORD dst_unused:UNUSED_PAD src0_sel:DWORD src1_sel:WORD_1
	v_mul_f16_sdwa v56, v9, v0 dst_sel:DWORD dst_unused:UNUSED_PAD src0_sel:DWORD src1_sel:WORD_1
	v_fma_f16 v17, v18, v35, -v51
	v_fma_f16 v18, v37, v2, -v54
	v_fma_f16 v37, v19, v2, v55
	v_fma_f16 v19, v36, v3, v44
	;; [unrolled: 1-line block ×6, first 2 shown]
	v_fma_f16 v24, v9, v0, -v57
	v_add_f16_e32 v9, v10, v11
	v_add_f16_e32 v13, v12, v14
	v_sub_f16_e32 v43, v12, v10
	v_sub_f16_e32 v44, v14, v11
	;; [unrolled: 1-line block ×4, first 2 shown]
	v_add_f16_e32 v54, v39, v15
	v_fma_f16 v41, v25, v35, v53
	v_add_f16_e32 v25, v8, v12
	v_add_f16_e32 v52, v19, v22
	;; [unrolled: 1-line block ×3, first 2 shown]
	v_fma_f16 v9, v9, -0.5, v8
	v_fma_f16 v8, v13, -0.5, v8
	v_add_f16_e32 v13, v43, v44
	v_add_f16_e32 v43, v45, v46
	;; [unrolled: 1-line block ×3, first 2 shown]
	v_sub_f16_e32 v47, v15, v19
	v_sub_f16_e32 v48, v23, v22
	;; [unrolled: 1-line block ×6, first 2 shown]
	v_add_f16_e32 v10, v25, v10
	v_fma_f16 v25, v52, -0.5, v39
	v_fma_f16 v39, v53, -0.5, v39
	v_sub_f16_e32 v19, v19, v15
	v_add_f16_e32 v15, v45, v22
	v_sub_f16_e32 v22, v22, v23
	v_add_f16_e32 v44, v47, v48
	v_add_f16_e32 v10, v10, v11
	v_fma_f16 v11, v12, s6, v9
	v_fma_f16 v46, v51, s4, v8
	;; [unrolled: 1-line block ×4, first 2 shown]
	v_add_f16_e32 v15, v15, v23
	v_add_f16_e32 v22, v19, v22
	v_fma_f16 v19, v49, s6, v39
	v_fma_f16 v23, v49, s4, v39
	;; [unrolled: 1-line block ×4, first 2 shown]
	v_add_f16_e32 v8, v10, v14
	v_fma_f16 v10, v51, s7, v11
	v_fma_f16 v14, v12, s7, v46
	;; [unrolled: 1-line block ×11, first 2 shown]
	v_sub_f16_e32 v22, v18, v40
	v_sub_f16_e32 v25, v17, v42
	v_add_f16_e32 v22, v22, v25
	v_add_f16_e32 v25, v40, v42
	v_fma_f16 v12, v12, s5, v47
	v_fma_f16 v46, v49, s5, v48
	v_fma_f16 v25, v25, -0.5, v24
	v_sub_f16_e32 v39, v37, v41
	v_fma_f16 v11, v13, s16, v11
	v_fma_f16 v12, v43, s16, v12
	;; [unrolled: 1-line block ×4, first 2 shown]
	v_sub_f16_e32 v44, v21, v36
	v_fma_f16 v25, v39, s4, v25
	v_fma_f16 v43, v44, s7, v43
	;; [unrolled: 1-line block ×5, first 2 shown]
	v_sub_f16_e32 v25, v40, v18
	v_sub_f16_e32 v45, v42, v17
	v_add_f16_e32 v25, v25, v45
	v_add_f16_e32 v45, v18, v17
	v_fma_f16 v45, v45, -0.5, v24
	v_add_f16_e32 v24, v24, v18
	v_fma_f16 v46, v44, s4, v45
	v_fma_f16 v44, v44, s6, v45
	v_add_f16_e32 v24, v24, v40
	v_fma_f16 v45, v39, s7, v46
	v_fma_f16 v39, v39, s5, v44
	;; [unrolled: 3-line block ×3, first 2 shown]
	v_add_f16_e32 v24, v24, v17
	v_sub_f16_e32 v17, v18, v17
	v_sub_f16_e32 v18, v40, v42
	;; [unrolled: 1-line block ×4, first 2 shown]
	v_fma_f16 v20, v20, v0, v56
	v_add_f16_e32 v25, v25, v40
	v_add_f16_e32 v40, v21, v36
	v_fma_f16 v40, v40, -0.5, v20
	v_fma_f16 v42, v17, s4, v40
	v_fma_f16 v40, v17, s6, v40
	;; [unrolled: 1-line block ×6, first 2 shown]
	v_add_f16_e32 v25, v37, v41
	v_fma_f16 v44, v25, -0.5, v20
	v_add_f16_e32 v20, v20, v37
	v_add_f16_e32 v20, v20, v21
	;; [unrolled: 1-line block ×3, first 2 shown]
	v_sub_f16_e32 v21, v21, v37
	v_add_f16_e32 v25, v20, v41
	v_sub_f16_e32 v20, v36, v41
	v_add_f16_e32 v20, v21, v20
	v_fma_f16 v21, v18, s6, v44
	v_fma_f16 v18, v18, s4, v44
	;; [unrolled: 1-line block ×6, first 2 shown]
	v_mul_f16_e32 v20, 0x38b4, v42
	v_fma_f16 v37, v43, s0, v20
	v_mul_f16_e32 v20, 0xb8b4, v43
	v_fma_f16 v44, v42, s0, v20
	;; [unrolled: 2-line block ×4, first 2 shown]
	v_mul_f16_e32 v18, 0x34f2, v39
	v_fma_f16 v45, v17, s6, -v18
	v_mul_f16_e32 v17, 0x34f2, v17
	v_fma_f16 v48, v39, s4, -v17
	;; [unrolled: 2-line block ×4, first 2 shown]
	v_sub_f16_e32 v17, v9, v37
	v_sub_f16_e32 v18, v10, v43
	;; [unrolled: 1-line block ×4, first 2 shown]
	v_mul_u32_u24_e32 v36, 50, v38
	v_sub_f16_e32 v38, v15, v25
	v_sub_f16_e32 v41, v13, v44
	;; [unrolled: 1-line block ×6, first 2 shown]
	s_and_saveexec_b64 s[0:1], vcc
	s_cbranch_execz .LBB0_5
; %bb.4:
	v_add_f16_e32 v13, v13, v44
	v_add_f16_e32 v15, v15, v25
	;; [unrolled: 1-line block ×8, first 2 shown]
	v_add_lshl_u32 v24, v36, v34, 2
	v_pack_b32_f16 v8, v8, v15
	v_pack_b32_f16 v9, v9, v13
	v_add_f16_e32 v14, v14, v49
	v_add_f16_e32 v11, v11, v47
	ds_write2_b32 v24, v8, v9 offset1:5
	v_pack_b32_f16 v8, v10, v19
	v_pack_b32_f16 v9, v12, v23
	s_mov_b32 s6, 0x5040100
	ds_write2_b32 v24, v8, v9 offset0:10 offset1:15
	v_pack_b32_f16 v8, v11, v14
	v_perm_b32 v9, v38, v20, s6
	ds_write2_b32 v24, v8, v9 offset0:20 offset1:25
	v_perm_b32 v8, v41, v17, s6
	v_perm_b32 v9, v39, v18, s6
	ds_write2_b32 v24, v8, v9 offset0:30 offset1:35
	v_perm_b32 v8, v42, v21, s6
	v_perm_b32 v9, v40, v22, s6
	ds_write2_b32 v24, v8, v9 offset0:40 offset1:45
.LBB0_5:
	s_or_b64 exec, exec, s[0:1]
	v_add_co_u32_e64 v25, s[0:1], s12, v27
	v_mov_b32_e32 v8, s13
	v_addc_co_u32_e64 v46, s[0:1], 0, v8, s[0:1]
	v_mov_b32_e32 v8, 41
	v_mul_lo_u16_sdwa v8, v32, v8 dst_sel:DWORD dst_unused:UNUSED_PAD src0_sel:BYTE_0 src1_sel:DWORD
	v_lshrrev_b16_e32 v47, 11, v8
	v_mul_lo_u16_e32 v8, 50, v47
	v_sub_u16_e32 v8, v32, v8
	v_and_b32_e32 v48, 0xff, v8
	v_lshlrev_b32_e32 v8, 4, v48
	s_waitcnt lgkmcnt(0)
	s_barrier
	global_load_dwordx4 v[8:11], v8, s[14:15] offset:180
	ds_read2_b32 v[12:13], v27 offset1:250
	v_add_u32_e32 v19, 0x7c0, v27
	ds_read2_b32 v[14:15], v19 offset0:4 offset1:254
	ds_read_b32 v44, v27 offset:4000
	s_movk_i32 s6, 0x3b9c
	s_waitcnt lgkmcnt(2)
	v_lshrrev_b32_e32 v24, 16, v13
	s_movk_i32 s12, 0x34f2
	s_waitcnt lgkmcnt(1)
	v_lshrrev_b32_e32 v37, 16, v14
	v_lshrrev_b32_e32 v43, 16, v15
	s_waitcnt lgkmcnt(0)
	v_lshrrev_b32_e32 v45, 16, v44
	v_lshrrev_b32_e32 v23, 16, v12
	s_waitcnt vmcnt(0)
	s_barrier
	s_movk_i32 s0, 0x1388
	v_mul_f16_sdwa v49, v24, v8 dst_sel:DWORD dst_unused:UNUSED_PAD src0_sel:DWORD src1_sel:WORD_1
	v_fma_f16 v49, v13, v8, -v49
	v_mul_f16_sdwa v13, v13, v8 dst_sel:DWORD dst_unused:UNUSED_PAD src0_sel:DWORD src1_sel:WORD_1
	v_fma_f16 v13, v24, v8, v13
	v_mul_f16_sdwa v24, v37, v9 dst_sel:DWORD dst_unused:UNUSED_PAD src0_sel:DWORD src1_sel:WORD_1
	v_fma_f16 v24, v14, v9, -v24
	v_mul_f16_sdwa v14, v14, v9 dst_sel:DWORD dst_unused:UNUSED_PAD src0_sel:DWORD src1_sel:WORD_1
	v_fma_f16 v14, v37, v9, v14
	;; [unrolled: 4-line block ×4, first 2 shown]
	v_add_f16_e32 v50, v24, v37
	v_fma_f16 v50, v50, -0.5, v12
	v_sub_f16_e32 v51, v13, v44
	v_fma_f16 v52, v51, s6, v50
	v_sub_f16_e32 v53, v14, v15
	v_sub_f16_e32 v54, v49, v24
	;; [unrolled: 1-line block ×3, first 2 shown]
	v_fma_f16 v50, v51, s4, v50
	v_fma_f16 v52, v53, s7, v52
	v_add_f16_e32 v54, v54, v55
	v_fma_f16 v50, v53, s5, v50
	v_add_f16_e32 v45, v12, v49
	v_fma_f16 v52, v54, s12, v52
	v_fma_f16 v50, v54, s12, v50
	v_add_f16_e32 v54, v49, v43
	v_add_f16_e32 v45, v45, v24
	v_fma_f16 v12, v54, -0.5, v12
	v_add_f16_e32 v45, v45, v37
	v_fma_f16 v54, v53, s4, v12
	v_fma_f16 v12, v53, s6, v12
	v_add_f16_e32 v53, v14, v15
	v_add_f16_e32 v45, v45, v43
	v_sub_f16_e32 v55, v24, v49
	v_sub_f16_e32 v56, v37, v43
	v_fma_f16 v53, v53, -0.5, v23
	v_sub_f16_e32 v43, v49, v43
	v_fma_f16 v54, v51, s7, v54
	v_add_f16_e32 v55, v55, v56
	v_fma_f16 v12, v51, s5, v12
	v_fma_f16 v49, v43, s4, v53
	v_sub_f16_e32 v24, v24, v37
	v_fma_f16 v54, v55, s12, v54
	v_fma_f16 v12, v55, s12, v12
	;; [unrolled: 1-line block ×3, first 2 shown]
	v_sub_f16_e32 v49, v13, v14
	v_sub_f16_e32 v55, v44, v15
	v_add_f16_e32 v49, v49, v55
	v_fma_f16 v55, v49, s12, v37
	v_fma_f16 v37, v43, s6, v53
	;; [unrolled: 1-line block ×3, first 2 shown]
	v_add_f16_e32 v51, v23, v13
	v_fma_f16 v49, v49, s12, v37
	v_add_f16_e32 v37, v13, v44
	v_add_f16_e32 v51, v51, v14
	v_fma_f16 v23, v37, -0.5, v23
	v_add_f16_e32 v51, v51, v15
	v_fma_f16 v37, v24, s6, v23
	v_sub_f16_e32 v13, v14, v13
	v_sub_f16_e32 v14, v15, v44
	v_fma_f16 v15, v24, s4, v23
	v_fma_f16 v37, v43, s5, v37
	v_add_f16_e32 v13, v13, v14
	v_fma_f16 v15, v43, s7, v15
	v_fma_f16 v14, v13, s12, v37
	;; [unrolled: 1-line block ×3, first 2 shown]
	v_mul_u32_u24_e32 v15, 0xfa, v47
	v_add_lshl_u32 v37, v15, v48, 2
	v_pack_b32_f16 v14, v54, v14
	v_pack_b32_f16 v12, v12, v13
	v_add_f16_e32 v51, v51, v44
	ds_write2_b32 v37, v14, v12 offset0:100 offset1:150
	v_pack_b32_f16 v12, v50, v49
	v_pack_b32_f16 v15, v45, v51
	v_pack_b32_f16 v23, v52, v55
	ds_write_b32 v37, v12 offset:800
	v_lshlrev_b32_e32 v12, 4, v32
	ds_write2_b32 v37, v15, v23 offset1:50
	s_waitcnt lgkmcnt(0)
	s_barrier
	global_load_dwordx4 v[12:15], v12, s[14:15] offset:980
	ds_read2_b32 v[23:24], v27 offset1:250
	ds_read2_b32 v[43:44], v19 offset0:4 offset1:254
	ds_read_b32 v50, v27 offset:4000
	s_waitcnt lgkmcnt(2)
	v_lshrrev_b32_e32 v47, 16, v24
	s_waitcnt lgkmcnt(1)
	v_lshrrev_b32_e32 v48, 16, v43
	v_lshrrev_b32_e32 v49, 16, v44
	s_waitcnt lgkmcnt(0)
	v_lshrrev_b32_e32 v51, 16, v50
	v_lshrrev_b32_e32 v45, 16, v23
	s_waitcnt vmcnt(0)
	v_mul_f16_sdwa v52, v47, v12 dst_sel:DWORD dst_unused:UNUSED_PAD src0_sel:DWORD src1_sel:WORD_1
	v_fma_f16 v52, v24, v12, -v52
	v_mul_f16_sdwa v24, v24, v12 dst_sel:DWORD dst_unused:UNUSED_PAD src0_sel:DWORD src1_sel:WORD_1
	v_fma_f16 v24, v47, v12, v24
	v_mul_f16_sdwa v47, v48, v13 dst_sel:DWORD dst_unused:UNUSED_PAD src0_sel:DWORD src1_sel:WORD_1
	v_fma_f16 v47, v43, v13, -v47
	v_mul_f16_sdwa v43, v43, v13 dst_sel:DWORD dst_unused:UNUSED_PAD src0_sel:DWORD src1_sel:WORD_1
	v_fma_f16 v43, v48, v13, v43
	;; [unrolled: 4-line block ×4, first 2 shown]
	v_add_f16_e32 v53, v47, v48
	v_fma_f16 v53, v53, -0.5, v23
	v_sub_f16_e32 v54, v24, v50
	v_fma_f16 v55, v54, s6, v53
	v_sub_f16_e32 v56, v43, v44
	v_sub_f16_e32 v57, v52, v47
	;; [unrolled: 1-line block ×3, first 2 shown]
	v_fma_f16 v53, v54, s4, v53
	v_fma_f16 v55, v56, s7, v55
	v_add_f16_e32 v57, v57, v58
	v_fma_f16 v53, v56, s5, v53
	v_add_f16_e32 v51, v23, v52
	v_fma_f16 v55, v57, s12, v55
	v_fma_f16 v53, v57, s12, v53
	v_add_f16_e32 v57, v52, v49
	v_add_f16_e32 v51, v51, v47
	v_fma_f16 v23, v57, -0.5, v23
	v_add_f16_e32 v51, v51, v48
	v_fma_f16 v57, v56, s4, v23
	v_fma_f16 v23, v56, s6, v23
	v_add_f16_e32 v56, v43, v44
	v_add_f16_e32 v51, v51, v49
	v_sub_f16_e32 v58, v47, v52
	v_sub_f16_e32 v59, v48, v49
	v_fma_f16 v56, v56, -0.5, v45
	v_sub_f16_e32 v49, v52, v49
	v_fma_f16 v57, v54, s7, v57
	v_add_f16_e32 v58, v58, v59
	v_fma_f16 v23, v54, s5, v23
	v_fma_f16 v52, v49, s4, v56
	v_sub_f16_e32 v47, v47, v48
	v_fma_f16 v57, v58, s12, v57
	v_fma_f16 v23, v58, s12, v23
	v_fma_f16 v48, v47, s5, v52
	v_sub_f16_e32 v52, v24, v43
	v_sub_f16_e32 v58, v50, v44
	v_fma_f16 v56, v49, s6, v56
	v_add_f16_e32 v52, v52, v58
	v_fma_f16 v56, v47, s7, v56
	v_add_f16_e32 v54, v45, v24
	v_fma_f16 v48, v52, s12, v48
	v_fma_f16 v52, v52, s12, v56
	v_add_f16_e32 v56, v24, v50
	v_add_f16_e32 v54, v54, v43
	v_fma_f16 v45, v56, -0.5, v45
	v_add_f16_e32 v54, v54, v44
	v_fma_f16 v56, v47, s6, v45
	v_sub_f16_e32 v24, v43, v24
	v_sub_f16_e32 v43, v44, v50
	v_fma_f16 v44, v47, s4, v45
	v_fma_f16 v56, v49, s5, v56
	v_add_f16_e32 v24, v24, v43
	v_fma_f16 v44, v49, s7, v44
	v_add_f16_e32 v54, v54, v50
	v_fma_f16 v43, v24, s12, v56
	v_fma_f16 v24, v24, s12, v44
	v_pack_b32_f16 v44, v51, v54
	v_pack_b32_f16 v45, v55, v48
	;; [unrolled: 1-line block ×4, first 2 shown]
	ds_write2_b32 v27, v44, v45 offset1:250
	ds_write2_b32 v19, v43, v23 offset0:4 offset1:254
	v_add_co_u32_e64 v43, s[0:1], s0, v25
	v_addc_co_u32_e64 v44, s[0:1], 0, v46, s[0:1]
	s_movk_i32 s0, 0x1000
	v_add_co_u32_e64 v45, s[0:1], s0, v25
	v_pack_b32_f16 v23, v53, v52
	v_addc_co_u32_e64 v46, s[0:1], 0, v46, s[0:1]
	ds_write_b32 v27, v23 offset:4000
	s_waitcnt lgkmcnt(0)
	s_barrier
	global_load_dword v25, v[45:46], off offset:904
	ds_read2_b32 v[23:24], v27 offset1:250
	s_mov_b32 s0, 0xffff
	s_waitcnt lgkmcnt(0)
	v_lshrrev_b32_e32 v47, 16, v23
	s_waitcnt vmcnt(0)
	v_mul_f16_sdwa v45, v47, v25 dst_sel:DWORD dst_unused:UNUSED_PAD src0_sel:DWORD src1_sel:WORD_1
	v_fma_f16 v45, v23, v25, -v45
	v_mul_f16_sdwa v23, v23, v25 dst_sel:DWORD dst_unused:UNUSED_PAD src0_sel:DWORD src1_sel:WORD_1
	v_fma_f16 v23, v47, v25, v23
	v_pack_b32_f16 v23, v45, v23
	global_load_dword v45, v[43:44], off offset:1000
	v_lshrrev_b32_e32 v25, 16, v24
	s_waitcnt vmcnt(0)
	v_mul_f16_sdwa v46, v25, v45 dst_sel:DWORD dst_unused:UNUSED_PAD src0_sel:DWORD src1_sel:WORD_1
	v_fma_f16 v46, v24, v45, -v46
	v_mul_f16_sdwa v24, v24, v45 dst_sel:DWORD dst_unused:UNUSED_PAD src0_sel:DWORD src1_sel:WORD_1
	v_fma_f16 v24, v25, v45, v24
	global_load_dword v45, v[43:44], off offset:2000
	v_pack_b32_f16 v24, v46, v24
	ds_write2_b32 v27, v23, v24 offset1:250
	ds_read2_b32 v[23:24], v19 offset0:4 offset1:254
	s_waitcnt lgkmcnt(0)
	v_lshrrev_b32_e32 v25, 16, v23
	s_waitcnt vmcnt(0)
	v_mul_f16_sdwa v46, v25, v45 dst_sel:DWORD dst_unused:UNUSED_PAD src0_sel:DWORD src1_sel:WORD_1
	v_fma_f16 v46, v23, v45, -v46
	v_mul_f16_sdwa v23, v23, v45 dst_sel:DWORD dst_unused:UNUSED_PAD src0_sel:DWORD src1_sel:WORD_1
	v_fma_f16 v23, v25, v45, v23
	global_load_dword v45, v[43:44], off offset:3000
	v_lshrrev_b32_e32 v25, 16, v24
	v_pack_b32_f16 v23, v46, v23
	s_waitcnt vmcnt(0)
	v_mul_f16_sdwa v46, v25, v45 dst_sel:DWORD dst_unused:UNUSED_PAD src0_sel:DWORD src1_sel:WORD_1
	v_fma_f16 v46, v24, v45, -v46
	v_mul_f16_sdwa v24, v24, v45 dst_sel:DWORD dst_unused:UNUSED_PAD src0_sel:DWORD src1_sel:WORD_1
	v_fma_f16 v24, v25, v45, v24
	global_load_dword v25, v[43:44], off offset:4000
	v_pack_b32_f16 v24, v46, v24
	ds_write2_b32 v19, v23, v24 offset0:4 offset1:254
	ds_read_b32 v23, v27 offset:4000
	s_waitcnt lgkmcnt(0)
	v_lshrrev_b32_e32 v24, 16, v23
	s_waitcnt vmcnt(0)
	v_mul_f16_sdwa v43, v24, v25 dst_sel:DWORD dst_unused:UNUSED_PAD src0_sel:DWORD src1_sel:WORD_1
	v_fma_f16 v43, v23, v25, -v43
	v_mul_f16_sdwa v23, v23, v25 dst_sel:DWORD dst_unused:UNUSED_PAD src0_sel:DWORD src1_sel:WORD_1
	v_fma_f16 v23, v24, v25, v23
	v_pack_b32_f16 v23, v43, v23
	ds_write_b32 v27, v23 offset:4000
	s_waitcnt lgkmcnt(0)
	s_barrier
	ds_read2_b32 v[44:45], v27 offset1:250
	ds_read2_b32 v[46:47], v19 offset0:4 offset1:254
	ds_read_b32 v19, v27 offset:4000
	s_waitcnt lgkmcnt(0)
	s_barrier
	v_pk_add_f16 v23, v44, v45
	v_pk_add_f16 v23, v23, v46
	v_pk_add_f16 v23, v23, v47
	v_pk_add_f16 v23, v23, v19
	v_pk_add_f16 v24, v45, v19 neg_lo:[0,1] neg_hi:[0,1]
	v_pk_add_f16 v25, v45, v19
	v_pk_add_f16 v43, v46, v45 neg_lo:[0,1] neg_hi:[0,1]
	v_pk_add_f16 v50, v47, v19 neg_lo:[0,1] neg_hi:[0,1]
	v_pk_add_f16 v51, v46, v47
	v_pk_add_f16 v45, v45, v46 neg_lo:[0,1] neg_hi:[0,1]
	v_pk_add_f16 v19, v19, v47 neg_lo:[0,1] neg_hi:[0,1]
	;; [unrolled: 1-line block ×3, first 2 shown]
	v_pk_fma_f16 v49, v25, 0.5, v44 op_sel_hi:[1,0,1] neg_lo:[1,0,0] neg_hi:[1,0,0]
	v_pk_fma_f16 v44, v51, 0.5, v44 op_sel_hi:[1,0,1] neg_lo:[1,0,0] neg_hi:[1,0,0]
	v_pk_add_f16 v46, v45, v19
	v_pk_mul_f16 v19, v24, s6 op_sel_hi:[1,0]
	v_pk_mul_f16 v45, v48, s7 op_sel_hi:[1,0]
	v_pk_add_f16 v47, v44, v19 op_sel:[0,1] op_sel_hi:[1,0]
	v_pk_add_f16 v19, v44, v19 op_sel:[0,1] op_sel_hi:[1,0] neg_lo:[0,1] neg_hi:[0,1]
	v_pk_fma_f16 v25, v48, s6, v49 op_sel:[0,0,1] op_sel_hi:[1,0,0]
	v_pk_add_f16 v43, v43, v50
	v_pk_add_f16 v44, v47, v45 op_sel:[0,1] op_sel_hi:[1,0]
	v_pk_add_f16 v47, v19, v45 op_sel:[0,1] op_sel_hi:[1,0] neg_lo:[0,1] neg_hi:[0,1]
	v_pk_fma_f16 v45, v48, s6, v49 op_sel:[0,0,1] op_sel_hi:[1,0,0] neg_lo:[1,0,0] neg_hi:[1,0,0]
	v_pk_fma_f16 v25, v24, s7, v25 op_sel_hi:[1,0,1] neg_lo:[1,0,0] neg_hi:[1,0,0]
	v_pk_mul_f16 v50, v43, s12 op_sel_hi:[1,0]
	v_pk_fma_f16 v24, v24, s7, v45 op_sel_hi:[1,0,1]
	v_pk_add_f16 v45, v50, v24 op_sel:[1,0] op_sel_hi:[0,1]
	v_bfi_b32 v24, s0, v47, v44
	v_pk_add_f16 v43, v50, v25 op_sel:[1,0] op_sel_hi:[0,1]
	v_bfi_b32 v19, s0, v44, v47
	v_pk_fma_f16 v24, v46, s12, v24 op_sel_hi:[1,0,1]
	v_lshrrev_b32_e32 v25, 16, v43
	v_pk_fma_f16 v19, v46, s12, v19 op_sel_hi:[1,0,1]
	v_lshrrev_b32_e32 v44, 16, v24
	v_alignbit_b32 v46, v43, v45, 16
	v_alignbit_b32 v47, v45, v43, 16
	ds_write2_b32 v26, v23, v24 offset1:1
	ds_write2_b32 v26, v47, v46 offset0:2 offset1:3
	ds_write_b32 v26, v19 offset:16
	s_waitcnt lgkmcnt(0)
	s_barrier
	s_and_saveexec_b64 s[0:1], vcc
	s_cbranch_execz .LBB0_7
; %bb.6:
	v_add_u32_e32 v17, 0x200, v27
	ds_read2_b32 v[23:24], v27 offset1:125
	v_add_u32_e32 v18, 0x600, v27
	ds_read2_b32 v[25:26], v17 offset0:122 offset1:247
	ds_read2_b32 v[19:20], v18 offset0:116 offset1:241
	v_add_u32_e32 v17, 0xa00, v27
	v_add_u32_e32 v21, 0xe00, v27
	ds_read2_b32 v[17:18], v17 offset0:110 offset1:235
	ds_read2_b32 v[21:22], v21 offset0:104 offset1:229
	s_waitcnt lgkmcnt(4)
	v_lshrrev_b32_e32 v44, 16, v24
	s_waitcnt lgkmcnt(3)
	v_lshrrev_b32_e32 v43, 16, v26
	;; [unrolled: 2-line block ×4, first 2 shown]
	v_lshrrev_b32_e32 v39, 16, v18
	s_waitcnt lgkmcnt(0)
	v_lshrrev_b32_e32 v42, 16, v21
	v_lshrrev_b32_e32 v40, 16, v22
	v_alignbit_b32 v45, v26, v25, 16
.LBB0_7:
	s_or_b64 exec, exec, s[0:1]
	s_barrier
	s_and_saveexec_b64 s[0:1], vcc
	s_cbranch_execz .LBB0_9
; %bb.8:
	v_mul_f16_sdwa v26, v1, v25 dst_sel:DWORD dst_unused:UNUSED_PAD src0_sel:WORD_1 src1_sel:DWORD
	v_lshrrev_b32_e32 v46, 16, v19
	v_mul_f16_sdwa v47, v3, v19 dst_sel:DWORD dst_unused:UNUSED_PAD src0_sel:WORD_1 src1_sel:DWORD
	v_mul_f16_sdwa v49, v7, v21 dst_sel:DWORD dst_unused:UNUSED_PAD src0_sel:WORD_1 src1_sel:DWORD
	;; [unrolled: 1-line block ×3, first 2 shown]
	v_fma_f16 v26, v1, v45, -v26
	v_fma_f16 v47, v3, v46, -v47
	;; [unrolled: 1-line block ×4, first 2 shown]
	v_mul_f16_sdwa v53, v1, v45 dst_sel:DWORD dst_unused:UNUSED_PAD src0_sel:WORD_1 src1_sel:DWORD
	v_sub_f16_e32 v48, v26, v47
	v_sub_f16_e32 v51, v49, v50
	v_fma_f16 v1, v1, v25, v53
	v_mul_f16_sdwa v25, v7, v42 dst_sel:DWORD dst_unused:UNUSED_PAD src0_sel:WORD_1 src1_sel:DWORD
	v_mul_f16_sdwa v42, v3, v46 dst_sel:DWORD dst_unused:UNUSED_PAD src0_sel:WORD_1 src1_sel:DWORD
	v_add_f16_e32 v48, v48, v51
	v_add_f16_e32 v51, v47, v50
	v_lshrrev_b32_e32 v52, 16, v23
	v_fma_f16 v7, v7, v21, v25
	v_fma_f16 v3, v3, v19, v42
	v_mul_f16_sdwa v19, v5, v41 dst_sel:DWORD dst_unused:UNUSED_PAD src0_sel:WORD_1 src1_sel:DWORD
	v_fma_f16 v51, v51, -0.5, v52
	v_sub_f16_e32 v21, v1, v7
	v_fma_f16 v5, v5, v17, v19
	v_fma_f16 v25, v21, s4, v51
	v_sub_f16_e32 v17, v3, v5
	v_fma_f16 v19, v17, s5, v25
	v_lshrrev_b32_e32 v25, 16, v45
	v_mul_f16_sdwa v41, v2, v43 dst_sel:DWORD dst_unused:UNUSED_PAD src0_sel:WORD_1 src1_sel:DWORD
	v_mul_f16_sdwa v42, v4, v38 dst_sel:DWORD dst_unused:UNUSED_PAD src0_sel:WORD_1 src1_sel:DWORD
	;; [unrolled: 1-line block ×4, first 2 shown]
	v_fma_f16 v41, v2, v25, v41
	v_fma_f16 v42, v4, v20, v42
	;; [unrolled: 1-line block ×4, first 2 shown]
	v_sub_f16_e32 v45, v41, v42
	v_sub_f16_e32 v54, v46, v53
	v_add_f16_e32 v45, v45, v54
	v_mul_f16_sdwa v54, v0, v44 dst_sel:DWORD dst_unused:UNUSED_PAD src0_sel:WORD_1 src1_sel:DWORD
	v_mul_f16_sdwa v25, v2, v25 dst_sel:DWORD dst_unused:UNUSED_PAD src0_sel:WORD_1 src1_sel:DWORD
	;; [unrolled: 1-line block ×5, first 2 shown]
	v_sub_f16_e32 v56, v47, v26
	v_sub_f16_e32 v57, v50, v49
	v_fma_f16 v54, v0, v24, v54
	v_add_f16_e32 v55, v42, v53
	v_fma_f16 v2, v2, v43, -v25
	v_fma_f16 v22, v35, v40, -v22
	;; [unrolled: 1-line block ×4, first 2 shown]
	v_add_f16_e32 v56, v56, v57
	v_add_f16_e32 v57, v26, v49
	v_fma_f16 v55, v55, -0.5, v54
	v_sub_f16_e32 v25, v2, v22
	s_movk_i32 s7, 0x3b9c
	v_mul_f16_sdwa v24, v0, v24 dst_sel:DWORD dst_unused:UNUSED_PAD src0_sel:WORD_1 src1_sel:DWORD
	v_fma_f16 v57, v57, -0.5, v52
	v_sub_f16_e32 v59, v42, v41
	v_sub_f16_e32 v60, v53, v46
	;; [unrolled: 1-line block ×4, first 2 shown]
	v_fma_f16 v35, v25, s7, v55
	v_sub_f16_e32 v18, v4, v6
	s_movk_i32 s12, 0x38b4
	v_fma_f16 v0, v0, v44, -v24
	v_add_f16_e32 v24, v4, v6
	v_fma_f16 v58, v17, s7, v57
	v_add_f16_e32 v59, v59, v60
	v_add_f16_e32 v60, v41, v46
	;; [unrolled: 1-line block ×4, first 2 shown]
	v_fma_f16 v57, v17, s4, v57
	s_movk_i32 s6, 0x34f2
	v_fma_f16 v20, v18, s12, v35
	v_sub_f16_e32 v35, v2, v4
	v_sub_f16_e32 v38, v22, v6
	v_fma_f16 v24, v24, -0.5, v0
	v_fma_f16 v58, v21, s5, v58
	v_fma_f16 v60, v60, -0.5, v54
	v_fma_f16 v63, v63, -0.5, v0
	v_fma_f16 v57, v21, s12, v57
	v_fma_f16 v21, v21, s7, v51
	v_add_f16_e32 v0, v0, v2
	v_add_f16_e32 v35, v35, v38
	v_sub_f16_e32 v38, v41, v46
	v_fma_f16 v58, v56, s6, v58
	v_fma_f16 v61, v18, s4, v60
	;; [unrolled: 1-line block ×6, first 2 shown]
	v_add_f16_e32 v0, v0, v4
	v_fma_f16 v39, v38, s4, v24
	v_sub_f16_e32 v40, v42, v53
	v_fma_f16 v61, v25, s12, v61
	v_fma_f16 v57, v25, s5, v57
	;; [unrolled: 1-line block ×4, first 2 shown]
	v_add_f16_e32 v0, v0, v6
	v_sub_f16_e32 v4, v1, v3
	v_sub_f16_e32 v6, v7, v5
	v_fma_f16 v20, v45, s6, v20
	v_fma_f16 v39, v40, s5, v39
	;; [unrolled: 1-line block ×8, first 2 shown]
	v_add_f16_e32 v4, v4, v6
	v_add_f16_e32 v6, v3, v5
	v_sub_f16_e32 v40, v3, v1
	v_sub_f16_e32 v45, v5, v7
	v_add_f16_e32 v0, v0, v22
	v_fma_f16 v6, v6, -0.5, v23
	v_sub_f16_e32 v22, v26, v49
	v_add_f16_e32 v40, v40, v45
	v_add_f16_e32 v45, v1, v7
	;; [unrolled: 1-line block ×3, first 2 shown]
	v_fma_f16 v39, v35, s6, v39
	v_fma_f16 v64, v38, s5, v64
	;; [unrolled: 1-line block ×4, first 2 shown]
	v_add_f16_e32 v35, v52, v26
	v_fma_f16 v26, v22, s7, v6
	v_sub_f16_e32 v38, v47, v50
	v_fma_f16 v45, v45, -0.5, v23
	v_fma_f16 v6, v22, s4, v6
	v_add_f16_e32 v1, v1, v3
	v_add_f16_e32 v3, v54, v41
	;; [unrolled: 1-line block ×3, first 2 shown]
	v_fma_f16 v26, v38, s12, v26
	v_fma_f16 v47, v38, s4, v45
	;; [unrolled: 1-line block ×4, first 2 shown]
	v_add_f16_e32 v3, v3, v42
	v_fma_f16 v64, v62, s6, v64
	v_fma_f16 v59, v62, s6, v59
	s_movk_i32 s15, 0x3a79
	v_mul_f16_e32 v24, 0x3a79, v21
	v_add_f16_e32 v35, v35, v50
	v_fma_f16 v26, v4, s6, v26
	v_fma_f16 v47, v22, s12, v47
	;; [unrolled: 1-line block ×4, first 2 shown]
	v_mul_f16_e32 v6, 0xb8b4, v21
	v_add_f16_e32 v1, v1, v5
	v_add_f16_e32 v3, v3, v53
	v_fma_f16 v19, v48, s6, v19
	v_mul_f16_e32 v43, 0xba79, v39
	s_mov_b32 s14, 0xb4f2
	v_mul_f16_e32 v65, 0xb4f2, v64
	v_mul_f16_e32 v60, 0x34f2, v59
	v_fma_f16 v17, v48, s6, v17
	v_fma_f16 v24, v18, s12, v24
	v_add_f16_e32 v35, v35, v49
	v_fma_f16 v47, v40, s6, v47
	v_mul_f16_e32 v48, 0xbb9c, v64
	v_fma_f16 v40, v40, s6, v45
	v_mul_f16_e32 v45, 0xbb9c, v59
	v_fma_f16 v6, v18, s15, v6
	v_add_f16_e32 v1, v1, v7
	v_add_f16_e32 v3, v3, v46
	s_mov_b32 s13, 0xba79
	v_fma_f16 v43, v20, s12, v43
	v_fma_f16 v65, v61, s7, v65
	;; [unrolled: 1-line block ×3, first 2 shown]
	v_sub_f16_e32 v25, v17, v24
	v_sub_f16_e32 v2, v35, v0
	v_mul_f16_e32 v39, 0xb8b4, v39
	v_fma_f16 v48, v61, s14, v48
	v_fma_f16 v45, v57, s6, v45
	v_sub_f16_e32 v18, v4, v6
	v_sub_f16_e32 v5, v1, v3
	v_add_f16_e32 v17, v17, v24
	v_add_f16_e32 v0, v35, v0
	;; [unrolled: 1-line block ×4, first 2 shown]
	v_sub_f16_e32 v44, v19, v43
	v_fma_f16 v20, v20, s13, v39
	v_add_f16_e32 v7, v19, v43
	v_add_f16_e32 v19, v58, v65
	;; [unrolled: 1-line block ×5, first 2 shown]
	v_add_lshl_u32 v3, v36, v34, 2
	v_pack_b32_f16 v0, v1, v0
	v_pack_b32_f16 v1, v4, v17
	v_sub_f16_e32 v39, v26, v20
	v_add_f16_e32 v20, v26, v20
	ds_write2_b32 v3, v0, v1 offset1:5
	v_pack_b32_f16 v0, v23, v21
	v_pack_b32_f16 v1, v22, v19
	v_sub_f16_e32 v62, v56, v60
	v_sub_f16_e32 v50, v40, v45
	ds_write2_b32 v3, v0, v1 offset0:10 offset1:15
	v_pack_b32_f16 v0, v20, v7
	v_pack_b32_f16 v1, v5, v2
	v_sub_f16_e32 v66, v58, v65
	v_sub_f16_e32 v49, v47, v48
	ds_write2_b32 v3, v0, v1 offset0:20 offset1:25
	v_pack_b32_f16 v0, v18, v25
	v_pack_b32_f16 v1, v50, v62
	ds_write2_b32 v3, v0, v1 offset0:30 offset1:35
	v_pack_b32_f16 v0, v49, v66
	v_pack_b32_f16 v1, v39, v44
	ds_write2_b32 v3, v0, v1 offset0:40 offset1:45
.LBB0_9:
	s_or_b64 exec, exec, s[0:1]
	s_waitcnt lgkmcnt(0)
	s_barrier
	ds_read2_b32 v[0:1], v27 offset1:250
	v_add_u32_e32 v17, 0x7c0, v27
	ds_read2_b32 v[2:3], v17 offset0:4 offset1:254
	ds_read_b32 v4, v27 offset:4000
	s_mov_b32 s0, 0xbb9c
	s_movk_i32 s5, 0x3b9c
	s_waitcnt lgkmcnt(2)
	v_lshrrev_b32_e32 v6, 16, v1
	v_mul_f16_sdwa v20, v8, v6 dst_sel:DWORD dst_unused:UNUSED_PAD src0_sel:WORD_1 src1_sel:DWORD
	s_waitcnt lgkmcnt(1)
	v_lshrrev_b32_e32 v7, 16, v2
	v_fma_f16 v20, v8, v1, v20
	v_mul_f16_sdwa v1, v8, v1 dst_sel:DWORD dst_unused:UNUSED_PAD src0_sel:WORD_1 src1_sel:DWORD
	v_fma_f16 v1, v8, v6, -v1
	v_mul_f16_sdwa v6, v9, v7 dst_sel:DWORD dst_unused:UNUSED_PAD src0_sel:WORD_1 src1_sel:DWORD
	v_lshrrev_b32_e32 v18, 16, v3
	s_waitcnt lgkmcnt(0)
	v_lshrrev_b32_e32 v19, 16, v4
	v_fma_f16 v6, v9, v2, v6
	v_mul_f16_sdwa v2, v9, v2 dst_sel:DWORD dst_unused:UNUSED_PAD src0_sel:WORD_1 src1_sel:DWORD
	v_fma_f16 v2, v9, v7, -v2
	v_mul_f16_sdwa v7, v10, v18 dst_sel:DWORD dst_unused:UNUSED_PAD src0_sel:WORD_1 src1_sel:DWORD
	v_mul_f16_sdwa v8, v11, v19 dst_sel:DWORD dst_unused:UNUSED_PAD src0_sel:WORD_1 src1_sel:DWORD
	v_fma_f16 v7, v10, v3, v7
	v_mul_f16_sdwa v3, v10, v3 dst_sel:DWORD dst_unused:UNUSED_PAD src0_sel:WORD_1 src1_sel:DWORD
	v_fma_f16 v8, v11, v4, v8
	v_mul_f16_sdwa v4, v11, v4 dst_sel:DWORD dst_unused:UNUSED_PAD src0_sel:WORD_1 src1_sel:DWORD
	v_fma_f16 v3, v10, v18, -v3
	v_fma_f16 v4, v11, v19, -v4
	v_add_f16_e32 v10, v6, v7
	v_fma_f16 v10, v10, -0.5, v0
	v_sub_f16_e32 v11, v1, v4
	v_fma_f16 v18, v11, s0, v10
	v_sub_f16_e32 v19, v2, v3
	s_mov_b32 s1, 0xb8b4
	v_sub_f16_e32 v21, v20, v6
	v_sub_f16_e32 v22, v8, v7
	v_fma_f16 v10, v11, s5, v10
	s_movk_i32 s6, 0x38b4
	v_fma_f16 v18, v19, s1, v18
	v_add_f16_e32 v21, v21, v22
	s_movk_i32 s4, 0x34f2
	v_fma_f16 v10, v19, s6, v10
	v_add_f16_e32 v9, v0, v20
	v_fma_f16 v18, v21, s4, v18
	v_fma_f16 v10, v21, s4, v10
	v_add_f16_e32 v21, v20, v8
	v_lshrrev_b32_e32 v5, 16, v0
	v_add_f16_e32 v9, v9, v6
	v_fma_f16 v0, v21, -0.5, v0
	v_add_f16_e32 v9, v9, v7
	v_fma_f16 v21, v19, s5, v0
	v_fma_f16 v0, v19, s0, v0
	v_add_f16_e32 v19, v2, v3
	v_add_f16_e32 v9, v9, v8
	v_sub_f16_e32 v22, v6, v20
	v_sub_f16_e32 v23, v7, v8
	v_fma_f16 v19, v19, -0.5, v5
	v_sub_f16_e32 v8, v20, v8
	v_fma_f16 v21, v11, s1, v21
	v_add_f16_e32 v22, v22, v23
	v_fma_f16 v0, v11, s6, v0
	v_fma_f16 v20, v8, s5, v19
	v_sub_f16_e32 v6, v6, v7
	v_fma_f16 v21, v22, s4, v21
	v_fma_f16 v0, v22, s4, v0
	;; [unrolled: 1-line block ×3, first 2 shown]
	v_sub_f16_e32 v20, v1, v2
	v_sub_f16_e32 v22, v4, v3
	v_fma_f16 v19, v8, s0, v19
	v_add_f16_e32 v20, v20, v22
	v_fma_f16 v19, v6, s1, v19
	v_add_f16_e32 v11, v5, v1
	v_fma_f16 v7, v20, s4, v7
	v_fma_f16 v19, v20, s4, v19
	v_add_f16_e32 v20, v1, v4
	v_add_f16_e32 v11, v11, v2
	v_fma_f16 v5, v20, -0.5, v5
	v_add_f16_e32 v11, v11, v3
	v_fma_f16 v20, v6, s0, v5
	v_sub_f16_e32 v1, v2, v1
	v_sub_f16_e32 v2, v3, v4
	v_fma_f16 v3, v6, s5, v5
	v_fma_f16 v20, v8, s6, v20
	v_add_f16_e32 v1, v1, v2
	v_fma_f16 v3, v8, s1, v3
	v_fma_f16 v2, v1, s4, v20
	;; [unrolled: 1-line block ×3, first 2 shown]
	v_add_f16_e32 v11, v11, v4
	v_pack_b32_f16 v2, v21, v2
	v_pack_b32_f16 v0, v0, v1
	s_barrier
	v_pack_b32_f16 v3, v9, v11
	v_pack_b32_f16 v4, v18, v7
	ds_write2_b32 v37, v2, v0 offset0:100 offset1:150
	v_pack_b32_f16 v0, v10, v19
	ds_write2_b32 v37, v3, v4 offset1:50
	ds_write_b32 v37, v0 offset:800
	s_waitcnt lgkmcnt(0)
	s_barrier
	ds_read2_b32 v[0:1], v27 offset1:250
	ds_read2_b32 v[2:3], v17 offset0:4 offset1:254
	ds_read_b32 v4, v27 offset:4000
	s_movk_i32 s7, 0xffe
	s_waitcnt lgkmcnt(2)
	v_lshrrev_b32_e32 v6, 16, v1
	v_mul_f16_sdwa v10, v12, v6 dst_sel:DWORD dst_unused:UNUSED_PAD src0_sel:WORD_1 src1_sel:DWORD
	s_waitcnt lgkmcnt(1)
	v_lshrrev_b32_e32 v7, 16, v2
	v_fma_f16 v10, v12, v1, v10
	v_mul_f16_sdwa v1, v12, v1 dst_sel:DWORD dst_unused:UNUSED_PAD src0_sel:WORD_1 src1_sel:DWORD
	v_fma_f16 v1, v12, v6, -v1
	v_mul_f16_sdwa v6, v13, v7 dst_sel:DWORD dst_unused:UNUSED_PAD src0_sel:WORD_1 src1_sel:DWORD
	v_lshrrev_b32_e32 v8, 16, v3
	v_fma_f16 v6, v13, v2, v6
	v_mul_f16_sdwa v2, v13, v2 dst_sel:DWORD dst_unused:UNUSED_PAD src0_sel:WORD_1 src1_sel:DWORD
	v_fma_f16 v2, v13, v7, -v2
	v_mul_f16_sdwa v7, v14, v8 dst_sel:DWORD dst_unused:UNUSED_PAD src0_sel:WORD_1 src1_sel:DWORD
	s_waitcnt lgkmcnt(0)
	v_lshrrev_b32_e32 v9, 16, v4
	v_fma_f16 v7, v14, v3, v7
	v_mul_f16_sdwa v3, v14, v3 dst_sel:DWORD dst_unused:UNUSED_PAD src0_sel:WORD_1 src1_sel:DWORD
	v_fma_f16 v3, v14, v8, -v3
	v_mul_f16_sdwa v8, v15, v9 dst_sel:DWORD dst_unused:UNUSED_PAD src0_sel:WORD_1 src1_sel:DWORD
	v_fma_f16 v8, v15, v4, v8
	v_mul_f16_sdwa v4, v15, v4 dst_sel:DWORD dst_unused:UNUSED_PAD src0_sel:WORD_1 src1_sel:DWORD
	v_fma_f16 v4, v15, v9, -v4
	v_add_f16_e32 v11, v6, v7
	v_fma_f16 v11, v11, -0.5, v0
	v_sub_f16_e32 v12, v1, v4
	v_fma_f16 v13, v12, s0, v11
	v_sub_f16_e32 v14, v2, v3
	v_sub_f16_e32 v15, v10, v6
	;; [unrolled: 1-line block ×3, first 2 shown]
	v_fma_f16 v11, v12, s5, v11
	v_fma_f16 v13, v14, s1, v13
	v_add_f16_e32 v15, v15, v18
	v_fma_f16 v11, v14, s6, v11
	v_add_f16_e32 v9, v0, v10
	v_fma_f16 v13, v15, s4, v13
	v_fma_f16 v11, v15, s4, v11
	v_add_f16_e32 v15, v10, v8
	v_lshrrev_b32_e32 v5, 16, v0
	v_add_f16_e32 v9, v9, v6
	v_fma_f16 v0, v15, -0.5, v0
	v_add_f16_e32 v9, v9, v7
	v_fma_f16 v15, v14, s5, v0
	v_fma_f16 v0, v14, s0, v0
	v_add_f16_e32 v14, v2, v3
	v_add_f16_e32 v9, v9, v8
	v_sub_f16_e32 v18, v6, v10
	v_sub_f16_e32 v19, v7, v8
	v_fma_f16 v14, v14, -0.5, v5
	v_sub_f16_e32 v8, v10, v8
	v_fma_f16 v15, v12, s1, v15
	v_add_f16_e32 v18, v18, v19
	v_fma_f16 v0, v12, s6, v0
	v_fma_f16 v10, v8, s5, v14
	v_sub_f16_e32 v6, v6, v7
	v_fma_f16 v15, v18, s4, v15
	v_fma_f16 v0, v18, s4, v0
	;; [unrolled: 1-line block ×3, first 2 shown]
	v_sub_f16_e32 v10, v1, v2
	v_sub_f16_e32 v18, v4, v3
	v_fma_f16 v14, v8, s0, v14
	v_add_f16_e32 v10, v10, v18
	v_fma_f16 v14, v6, s1, v14
	v_add_f16_e32 v12, v5, v1
	v_fma_f16 v7, v10, s4, v7
	v_fma_f16 v10, v10, s4, v14
	v_add_f16_e32 v14, v1, v4
	v_add_f16_e32 v12, v12, v2
	v_fma_f16 v5, v14, -0.5, v5
	v_add_f16_e32 v12, v12, v3
	v_fma_f16 v14, v6, s0, v5
	v_sub_f16_e32 v1, v2, v1
	v_sub_f16_e32 v2, v3, v4
	v_fma_f16 v3, v6, s5, v5
	v_fma_f16 v14, v8, s6, v14
	v_add_f16_e32 v1, v1, v2
	v_fma_f16 v3, v8, s1, v3
	v_add_f16_e32 v12, v12, v4
	v_fma_f16 v2, v1, s4, v14
	v_fma_f16 v1, v1, s4, v3
	v_pack_b32_f16 v3, v9, v12
	v_pack_b32_f16 v4, v13, v7
	v_pack_b32_f16 v2, v15, v2
	v_pack_b32_f16 v0, v0, v1
	ds_write2_b32 v27, v3, v4 offset1:250
	ds_write2_b32 v17, v2, v0 offset0:4 offset1:254
	v_pack_b32_f16 v0, v11, v10
	ds_write_b32 v27, v0 offset:4000
	s_waitcnt lgkmcnt(0)
	s_barrier
	ds_read2_b32 v[0:1], v27 offset1:250
	s_mov_b32 s4, 0xeb1c432d
	s_mov_b32 s5, 0x3f4a36e2
	s_movk_i32 s6, 0x1ff
	s_waitcnt lgkmcnt(0)
	v_lshrrev_b32_e32 v8, 16, v0
	v_mul_f16_sdwa v2, v33, v8 dst_sel:DWORD dst_unused:UNUSED_PAD src0_sel:WORD_1 src1_sel:DWORD
	v_fma_f16 v2, v33, v0, v2
	v_cvt_f32_f16_e32 v4, v2
	v_mad_u64_u32 v[2:3], s[0:1], s10, v16, 0
	v_mul_f16_sdwa v0, v33, v0 dst_sel:DWORD dst_unused:UNUSED_PAD src0_sel:WORD_1 src1_sel:DWORD
	v_cvt_f64_f32_e32 v[4:5], v4
	v_fma_f16 v0, v33, v8, -v0
	s_movk_i32 s10, 0x40f
	v_mul_f64 v[4:5], v[4:5], s[4:5]
	v_mad_u64_u32 v[6:7], s[0:1], s11, v16, v[3:4]
	v_and_or_b32 v4, v5, s6, v4
	v_cmp_ne_u32_e32 vcc, 0, v4
	v_mov_b32_e32 v3, v6
	v_cndmask_b32_e64 v4, 0, 1, vcc
	v_lshrrev_b32_e32 v6, 8, v5
	v_bfe_u32 v7, v5, 20, 11
	v_and_or_b32 v4, v6, s7, v4
	v_sub_u32_e32 v9, 0x3f1, v7
	v_or_b32_e32 v6, 0x1000, v4
	v_med3_i32 v9, v9, 0, 13
	v_lshrrev_b32_e32 v10, v9, v6
	v_lshlrev_b32_e32 v9, v9, v10
	v_cmp_ne_u32_e32 vcc, v9, v6
	v_cndmask_b32_e64 v6, 0, 1, vcc
	v_add_u32_e32 v9, 0xfffffc10, v7
	v_or_b32_e32 v6, v10, v6
	v_lshl_or_b32 v7, v9, 12, v4
	v_cmp_gt_i32_e32 vcc, 1, v9
	v_cndmask_b32_e32 v6, v7, v6, vcc
	v_and_b32_e32 v7, 7, v6
	v_cmp_lt_i32_e32 vcc, 5, v7
	v_cmp_eq_u32_e64 s[0:1], 3, v7
	v_cvt_f32_f16_e32 v7, v0
	v_lshrrev_b32_e32 v6, 2, v6
	s_or_b64 vcc, s[0:1], vcc
	v_addc_co_u32_e32 v8, vcc, 0, v6, vcc
	v_cvt_f64_f32_e32 v[6:7], v7
	v_mov_b32_e32 v0, 0x7c00
	v_cmp_gt_i32_e32 vcc, 31, v9
	v_cndmask_b32_e32 v8, v0, v8, vcc
	v_mul_f64 v[6:7], v[6:7], s[4:5]
	v_cmp_ne_u32_e32 vcc, 0, v4
	v_cndmask_b32_e64 v4, 0, 1, vcc
	v_lshl_or_b32 v4, v4, 9, v0
	v_cmp_eq_u32_e32 vcc, s10, v9
	v_cndmask_b32_e32 v4, v8, v4, vcc
	v_lshrrev_b32_e32 v5, 16, v5
	s_mov_b32 s11, 0x8000
	v_and_or_b32 v8, v5, s11, v4
	v_and_or_b32 v4, v7, s6, v6
	v_cmp_ne_u32_e32 vcc, 0, v4
	v_cndmask_b32_e64 v4, 0, 1, vcc
	v_lshrrev_b32_e32 v5, 8, v7
	v_bfe_u32 v6, v7, 20, 11
	v_and_or_b32 v4, v5, s7, v4
	v_sub_u32_e32 v9, 0x3f1, v6
	v_or_b32_e32 v5, 0x1000, v4
	v_med3_i32 v9, v9, 0, 13
	v_lshrrev_b32_e32 v10, v9, v5
	v_lshlrev_b32_e32 v9, v9, v10
	v_cmp_ne_u32_e32 vcc, v9, v5
	v_cndmask_b32_e64 v5, 0, 1, vcc
	v_add_u32_e32 v6, 0xfffffc10, v6
	v_or_b32_e32 v5, v10, v5
	v_lshl_or_b32 v9, v6, 12, v4
	v_cmp_gt_i32_e32 vcc, 1, v6
	v_cndmask_b32_e32 v5, v9, v5, vcc
	v_and_b32_e32 v9, 7, v5
	v_cmp_lt_i32_e32 vcc, 5, v9
	v_cmp_eq_u32_e64 s[0:1], 3, v9
	v_lshrrev_b32_e32 v5, 2, v5
	s_or_b64 vcc, s[0:1], vcc
	v_addc_co_u32_e32 v5, vcc, 0, v5, vcc
	v_cmp_gt_i32_e32 vcc, 31, v6
	v_cndmask_b32_e32 v9, v0, v5, vcc
	v_cmp_ne_u32_e32 vcc, 0, v4
	v_cndmask_b32_e64 v4, 0, 1, vcc
	v_lshl_or_b32 v10, v4, 9, v0
	v_mad_u64_u32 v[4:5], s[0:1], s8, v32, 0
	v_cmp_eq_u32_e32 vcc, s10, v6
	v_cndmask_b32_e32 v9, v9, v10, vcc
	v_mad_u64_u32 v[5:6], s[0:1], s9, v32, v[5:6]
	v_lshrrev_b32_e32 v10, 16, v1
	v_mul_f16_sdwa v6, v31, v10 dst_sel:DWORD dst_unused:UNUSED_PAD src0_sel:WORD_1 src1_sel:DWORD
	v_fma_f16 v6, v31, v1, v6
	v_cvt_f32_f16_e32 v6, v6
	v_lshrrev_b32_e32 v7, 16, v7
	v_and_or_b32 v9, v7, s11, v9
	v_lshlrev_b64 v[2:3], 2, v[2:3]
	v_cvt_f64_f32_e32 v[6:7], v6
	v_and_b32_e32 v8, 0xffff, v8
	v_lshl_or_b32 v8, v9, 16, v8
	v_mov_b32_e32 v9, s3
	v_mul_f64 v[6:7], v[6:7], s[4:5]
	v_add_co_u32_e32 v11, vcc, s2, v2
	v_addc_co_u32_e32 v9, vcc, v9, v3, vcc
	v_lshlrev_b64 v[2:3], 2, v[4:5]
	v_mul_f16_sdwa v1, v31, v1 dst_sel:DWORD dst_unused:UNUSED_PAD src0_sel:WORD_1 src1_sel:DWORD
	v_add_co_u32_e32 v2, vcc, v11, v2
	v_addc_co_u32_e32 v3, vcc, v9, v3, vcc
	v_and_or_b32 v4, v7, s6, v6
	v_cmp_ne_u32_e32 vcc, 0, v4
	v_cndmask_b32_e64 v4, 0, 1, vcc
	v_lshrrev_b32_e32 v5, 8, v7
	v_and_or_b32 v6, v5, s7, v4
	v_bfe_u32 v5, v7, 20, 11
	global_store_dword v[2:3], v8, off
	v_sub_u32_e32 v8, 0x3f1, v5
	v_or_b32_e32 v4, 0x1000, v6
	v_med3_i32 v8, v8, 0, 13
	v_lshrrev_b32_e32 v9, v8, v4
	v_lshlrev_b32_e32 v8, v8, v9
	v_cmp_ne_u32_e32 vcc, v8, v4
	v_fma_f16 v1, v31, v10, -v1
	v_cndmask_b32_e64 v4, 0, 1, vcc
	v_add_u32_e32 v8, 0xfffffc10, v5
	v_cvt_f32_f16_e32 v1, v1
	v_or_b32_e32 v4, v9, v4
	v_lshl_or_b32 v5, v8, 12, v6
	v_cmp_gt_i32_e32 vcc, 1, v8
	v_cndmask_b32_e32 v4, v5, v4, vcc
	v_and_b32_e32 v5, 7, v4
	v_cmp_lt_i32_e32 vcc, 5, v5
	v_cmp_eq_u32_e64 s[0:1], 3, v5
	v_lshrrev_b32_e32 v9, 2, v4
	v_cvt_f64_f32_e32 v[4:5], v1
	s_or_b64 vcc, s[0:1], vcc
	v_addc_co_u32_e32 v1, vcc, 0, v9, vcc
	v_mul_f64 v[4:5], v[4:5], s[4:5]
	v_cmp_gt_i32_e32 vcc, 31, v8
	v_cndmask_b32_e32 v1, v0, v1, vcc
	v_cmp_ne_u32_e32 vcc, 0, v6
	v_cndmask_b32_e64 v6, 0, 1, vcc
	v_lshl_or_b32 v6, v6, 9, v0
	v_cmp_eq_u32_e32 vcc, s10, v8
	v_cndmask_b32_e32 v1, v1, v6, vcc
	v_and_or_b32 v4, v5, s6, v4
	v_lshrrev_b32_e32 v6, 16, v7
	v_cmp_ne_u32_e32 vcc, 0, v4
	v_and_or_b32 v1, v6, s11, v1
	v_cndmask_b32_e64 v4, 0, 1, vcc
	v_lshrrev_b32_e32 v6, 8, v5
	v_bfe_u32 v7, v5, 20, 11
	v_and_or_b32 v4, v6, s7, v4
	v_sub_u32_e32 v8, 0x3f1, v7
	v_or_b32_e32 v6, 0x1000, v4
	v_med3_i32 v8, v8, 0, 13
	v_lshrrev_b32_e32 v9, v8, v6
	v_lshlrev_b32_e32 v8, v8, v9
	v_cmp_ne_u32_e32 vcc, v8, v6
	v_cndmask_b32_e64 v6, 0, 1, vcc
	v_add_u32_e32 v8, 0xfffffc10, v7
	v_or_b32_e32 v6, v9, v6
	v_lshl_or_b32 v7, v8, 12, v4
	v_cmp_gt_i32_e32 vcc, 1, v8
	v_cndmask_b32_e32 v6, v7, v6, vcc
	v_and_b32_e32 v7, 7, v6
	v_cmp_lt_i32_e32 vcc, 5, v7
	v_cmp_eq_u32_e64 s[0:1], 3, v7
	v_lshrrev_b32_e32 v6, 2, v6
	s_or_b64 vcc, s[0:1], vcc
	v_addc_co_u32_e32 v6, vcc, 0, v6, vcc
	v_cmp_gt_i32_e32 vcc, 31, v8
	v_cndmask_b32_e32 v9, v0, v6, vcc
	ds_read2_b32 v[6:7], v17 offset0:4 offset1:254
	v_cmp_ne_u32_e32 vcc, 0, v4
	v_cndmask_b32_e64 v4, 0, 1, vcc
	v_lshl_or_b32 v4, v4, 9, v0
	v_cmp_eq_u32_e32 vcc, s10, v8
	s_waitcnt lgkmcnt(0)
	v_lshrrev_b32_e32 v8, 16, v6
	v_cndmask_b32_e32 v4, v9, v4, vcc
	v_mul_f16_sdwa v9, v30, v8 dst_sel:DWORD dst_unused:UNUSED_PAD src0_sel:WORD_1 src1_sel:DWORD
	v_fma_f16 v9, v30, v6, v9
	v_cvt_f32_f16_e32 v9, v9
	v_lshrrev_b32_e32 v5, 16, v5
	v_and_or_b32 v4, v5, s11, v4
	v_and_b32_e32 v1, 0xffff, v1
	v_lshl_or_b32 v10, v4, 16, v1
	v_cvt_f64_f32_e32 v[4:5], v9
	s_mul_i32 s0, s9, 0x3e8
	s_mul_hi_u32 s2, s8, 0x3e8
	s_add_i32 s2, s2, s0
	v_mul_f64 v[4:5], v[4:5], s[4:5]
	s_mul_i32 s3, s8, 0x3e8
	v_mov_b32_e32 v9, s2
	v_add_co_u32_e32 v1, vcc, s3, v2
	v_addc_co_u32_e32 v2, vcc, v3, v9, vcc
	global_store_dword v[1:2], v10, off
	v_and_or_b32 v3, v5, s6, v4
	v_cmp_ne_u32_e32 vcc, 0, v3
	v_cndmask_b32_e64 v3, 0, 1, vcc
	v_lshrrev_b32_e32 v4, 8, v5
	v_and_or_b32 v9, v4, s7, v3
	v_bfe_u32 v4, v5, 20, 11
	v_sub_u32_e32 v10, 0x3f1, v4
	v_or_b32_e32 v3, 0x1000, v9
	v_med3_i32 v10, v10, 0, 13
	v_lshrrev_b32_e32 v11, v10, v3
	v_lshlrev_b32_e32 v10, v10, v11
	v_mul_f16_sdwa v6, v30, v6 dst_sel:DWORD dst_unused:UNUSED_PAD src0_sel:WORD_1 src1_sel:DWORD
	v_cmp_ne_u32_e32 vcc, v10, v3
	v_fma_f16 v6, v30, v8, -v6
	v_cndmask_b32_e64 v3, 0, 1, vcc
	v_add_u32_e32 v10, 0xfffffc10, v4
	v_cvt_f32_f16_e32 v6, v6
	v_or_b32_e32 v3, v11, v3
	v_lshl_or_b32 v4, v10, 12, v9
	v_cmp_gt_i32_e32 vcc, 1, v10
	v_cndmask_b32_e32 v3, v4, v3, vcc
	v_and_b32_e32 v4, 7, v3
	v_cmp_lt_i32_e32 vcc, 5, v4
	v_cmp_eq_u32_e64 s[0:1], 3, v4
	v_lshrrev_b32_e32 v8, 2, v3
	v_cvt_f64_f32_e32 v[3:4], v6
	s_or_b64 vcc, s[0:1], vcc
	v_addc_co_u32_e32 v6, vcc, 0, v8, vcc
	v_mul_f64 v[3:4], v[3:4], s[4:5]
	v_cmp_gt_i32_e32 vcc, 31, v10
	v_cndmask_b32_e32 v6, v0, v6, vcc
	v_cmp_ne_u32_e32 vcc, 0, v9
	v_cndmask_b32_e64 v8, 0, 1, vcc
	v_lshl_or_b32 v8, v8, 9, v0
	v_cmp_eq_u32_e32 vcc, s10, v10
	v_cndmask_b32_e32 v6, v6, v8, vcc
	v_and_or_b32 v3, v4, s6, v3
	v_lshrrev_b32_e32 v5, 16, v5
	v_cmp_ne_u32_e32 vcc, 0, v3
	v_and_or_b32 v8, v5, s11, v6
	v_cndmask_b32_e64 v3, 0, 1, vcc
	v_lshrrev_b32_e32 v5, 8, v4
	v_bfe_u32 v6, v4, 20, 11
	v_and_or_b32 v3, v5, s7, v3
	v_sub_u32_e32 v9, 0x3f1, v6
	v_or_b32_e32 v5, 0x1000, v3
	v_med3_i32 v9, v9, 0, 13
	v_lshrrev_b32_e32 v10, v9, v5
	v_lshlrev_b32_e32 v9, v9, v10
	v_cmp_ne_u32_e32 vcc, v9, v5
	v_cndmask_b32_e64 v5, 0, 1, vcc
	v_add_u32_e32 v6, 0xfffffc10, v6
	v_or_b32_e32 v5, v10, v5
	v_lshl_or_b32 v9, v6, 12, v3
	v_cmp_gt_i32_e32 vcc, 1, v6
	v_cndmask_b32_e32 v5, v9, v5, vcc
	v_and_b32_e32 v9, 7, v5
	v_cmp_lt_i32_e32 vcc, 5, v9
	v_cmp_eq_u32_e64 s[0:1], 3, v9
	v_lshrrev_b32_e32 v9, 16, v7
	v_lshrrev_b32_e32 v5, 2, v5
	s_or_b64 vcc, s[0:1], vcc
	v_mul_f16_sdwa v10, v29, v9 dst_sel:DWORD dst_unused:UNUSED_PAD src0_sel:WORD_1 src1_sel:DWORD
	v_addc_co_u32_e32 v5, vcc, 0, v5, vcc
	v_fma_f16 v10, v29, v7, v10
	v_cmp_gt_i32_e32 vcc, 31, v6
	v_cvt_f32_f16_e32 v10, v10
	v_cndmask_b32_e32 v5, v0, v5, vcc
	v_cmp_ne_u32_e32 vcc, 0, v3
	v_cndmask_b32_e64 v3, 0, 1, vcc
	v_lshl_or_b32 v3, v3, 9, v0
	v_cmp_eq_u32_e32 vcc, s10, v6
	v_cndmask_b32_e32 v3, v5, v3, vcc
	v_cvt_f64_f32_e32 v[5:6], v10
	v_lshrrev_b32_e32 v4, 16, v4
	v_and_or_b32 v10, v4, s11, v3
	v_add_co_u32_e32 v1, vcc, s3, v1
	v_mul_f64 v[3:4], v[5:6], s[4:5]
	v_mov_b32_e32 v6, s2
	v_and_b32_e32 v8, 0xffff, v8
	v_addc_co_u32_e32 v2, vcc, v2, v6, vcc
	v_lshl_or_b32 v5, v10, 16, v8
	global_store_dword v[1:2], v5, off
	v_mul_f16_sdwa v7, v29, v7 dst_sel:DWORD dst_unused:UNUSED_PAD src0_sel:WORD_1 src1_sel:DWORD
	v_and_or_b32 v3, v4, s6, v3
	v_cmp_ne_u32_e32 vcc, 0, v3
	v_cndmask_b32_e64 v3, 0, 1, vcc
	v_lshrrev_b32_e32 v5, 8, v4
	v_bfe_u32 v6, v4, 20, 11
	v_and_or_b32 v3, v5, s7, v3
	v_sub_u32_e32 v8, 0x3f1, v6
	v_or_b32_e32 v5, 0x1000, v3
	v_med3_i32 v8, v8, 0, 13
	v_lshrrev_b32_e32 v10, v8, v5
	v_lshlrev_b32_e32 v8, v8, v10
	v_cmp_ne_u32_e32 vcc, v8, v5
	v_fma_f16 v7, v29, v9, -v7
	v_cndmask_b32_e64 v5, 0, 1, vcc
	v_add_u32_e32 v8, 0xfffffc10, v6
	v_cvt_f32_f16_e32 v7, v7
	v_or_b32_e32 v5, v10, v5
	v_lshl_or_b32 v6, v8, 12, v3
	v_cmp_gt_i32_e32 vcc, 1, v8
	v_cndmask_b32_e32 v5, v6, v5, vcc
	v_and_b32_e32 v6, 7, v5
	v_cmp_lt_i32_e32 vcc, 5, v6
	v_cmp_eq_u32_e64 s[0:1], 3, v6
	v_lshrrev_b32_e32 v9, 2, v5
	v_cvt_f64_f32_e32 v[5:6], v7
	s_or_b64 vcc, s[0:1], vcc
	v_addc_co_u32_e32 v7, vcc, 0, v9, vcc
	v_mul_f64 v[5:6], v[5:6], s[4:5]
	v_cmp_gt_i32_e32 vcc, 31, v8
	v_cndmask_b32_e32 v7, v0, v7, vcc
	v_cmp_ne_u32_e32 vcc, 0, v3
	v_cndmask_b32_e64 v3, 0, 1, vcc
	v_lshl_or_b32 v3, v3, 9, v0
	v_cmp_eq_u32_e32 vcc, s10, v8
	v_cndmask_b32_e32 v3, v7, v3, vcc
	v_lshrrev_b32_e32 v4, 16, v4
	v_and_or_b32 v7, v4, s11, v3
	v_and_or_b32 v3, v6, s6, v5
	v_cmp_ne_u32_e32 vcc, 0, v3
	v_cndmask_b32_e64 v3, 0, 1, vcc
	v_lshrrev_b32_e32 v4, 8, v6
	v_bfe_u32 v5, v6, 20, 11
	v_and_or_b32 v3, v4, s7, v3
	v_sub_u32_e32 v8, 0x3f1, v5
	v_or_b32_e32 v4, 0x1000, v3
	v_med3_i32 v8, v8, 0, 13
	v_lshrrev_b32_e32 v9, v8, v4
	v_lshlrev_b32_e32 v8, v8, v9
	v_cmp_ne_u32_e32 vcc, v8, v4
	v_cndmask_b32_e64 v4, 0, 1, vcc
	v_add_u32_e32 v5, 0xfffffc10, v5
	v_or_b32_e32 v4, v9, v4
	v_lshl_or_b32 v8, v5, 12, v3
	v_cmp_gt_i32_e32 vcc, 1, v5
	v_cndmask_b32_e32 v4, v8, v4, vcc
	v_and_b32_e32 v8, 7, v4
	v_cmp_lt_i32_e32 vcc, 5, v8
	v_cmp_eq_u32_e64 s[0:1], 3, v8
	ds_read_b32 v8, v27 offset:4000
	v_lshrrev_b32_e32 v4, 2, v4
	s_or_b64 vcc, s[0:1], vcc
	v_addc_co_u32_e32 v4, vcc, 0, v4, vcc
	s_waitcnt lgkmcnt(0)
	v_lshrrev_b32_e32 v9, 16, v8
	v_mul_f16_sdwa v10, v28, v9 dst_sel:DWORD dst_unused:UNUSED_PAD src0_sel:WORD_1 src1_sel:DWORD
	v_fma_f16 v10, v28, v8, v10
	v_cmp_gt_i32_e32 vcc, 31, v5
	v_cvt_f32_f16_e32 v10, v10
	v_cndmask_b32_e32 v4, v0, v4, vcc
	v_cmp_ne_u32_e32 vcc, 0, v3
	v_cndmask_b32_e64 v3, 0, 1, vcc
	v_lshl_or_b32 v3, v3, 9, v0
	v_cmp_eq_u32_e32 vcc, s10, v5
	v_cndmask_b32_e32 v5, v4, v3, vcc
	v_cvt_f64_f32_e32 v[3:4], v10
	v_lshrrev_b32_e32 v6, 16, v6
	v_and_or_b32 v5, v6, s11, v5
	v_and_b32_e32 v6, 0xffff, v7
	v_mul_f64 v[3:4], v[3:4], s[4:5]
	v_lshl_or_b32 v5, v5, 16, v6
	v_mov_b32_e32 v6, s2
	v_add_co_u32_e32 v1, vcc, s3, v1
	v_addc_co_u32_e32 v2, vcc, v2, v6, vcc
	global_store_dword v[1:2], v5, off
	v_and_or_b32 v3, v4, s6, v3
	v_cmp_ne_u32_e32 vcc, 0, v3
	v_cndmask_b32_e64 v3, 0, 1, vcc
	v_lshrrev_b32_e32 v5, 8, v4
	v_bfe_u32 v6, v4, 20, 11
	v_and_or_b32 v3, v5, s7, v3
	v_sub_u32_e32 v7, 0x3f1, v6
	v_or_b32_e32 v5, 0x1000, v3
	v_med3_i32 v7, v7, 0, 13
	v_lshrrev_b32_e32 v10, v7, v5
	v_lshlrev_b32_e32 v7, v7, v10
	v_mul_f16_sdwa v8, v28, v8 dst_sel:DWORD dst_unused:UNUSED_PAD src0_sel:WORD_1 src1_sel:DWORD
	v_cmp_ne_u32_e32 vcc, v7, v5
	v_fma_f16 v8, v28, v9, -v8
	v_cndmask_b32_e64 v5, 0, 1, vcc
	v_add_u32_e32 v7, 0xfffffc10, v6
	v_cvt_f32_f16_e32 v8, v8
	v_or_b32_e32 v5, v10, v5
	v_lshl_or_b32 v6, v7, 12, v3
	v_cmp_gt_i32_e32 vcc, 1, v7
	v_cndmask_b32_e32 v5, v6, v5, vcc
	v_and_b32_e32 v6, 7, v5
	v_cmp_lt_i32_e32 vcc, 5, v6
	v_cmp_eq_u32_e64 s[0:1], 3, v6
	v_lshrrev_b32_e32 v9, 2, v5
	v_cvt_f64_f32_e32 v[5:6], v8
	s_or_b64 vcc, s[0:1], vcc
	v_addc_co_u32_e32 v8, vcc, 0, v9, vcc
	v_mul_f64 v[5:6], v[5:6], s[4:5]
	v_cmp_gt_i32_e32 vcc, 31, v7
	v_cndmask_b32_e32 v8, v0, v8, vcc
	v_cmp_ne_u32_e32 vcc, 0, v3
	v_cndmask_b32_e64 v3, 0, 1, vcc
	v_lshl_or_b32 v3, v3, 9, v0
	v_cmp_eq_u32_e32 vcc, s10, v7
	v_cndmask_b32_e32 v3, v8, v3, vcc
	v_lshrrev_b32_e32 v4, 16, v4
	v_and_or_b32 v3, v4, s11, v3
	v_and_or_b32 v4, v6, s6, v5
	v_cmp_ne_u32_e32 vcc, 0, v4
	v_cndmask_b32_e64 v4, 0, 1, vcc
	v_lshrrev_b32_e32 v5, 8, v6
	v_bfe_u32 v7, v6, 20, 11
	v_and_or_b32 v4, v5, s7, v4
	v_sub_u32_e32 v8, 0x3f1, v7
	v_or_b32_e32 v5, 0x1000, v4
	v_med3_i32 v8, v8, 0, 13
	v_lshrrev_b32_e32 v9, v8, v5
	v_lshlrev_b32_e32 v8, v8, v9
	v_cmp_ne_u32_e32 vcc, v8, v5
	v_cndmask_b32_e64 v5, 0, 1, vcc
	v_add_u32_e32 v7, 0xfffffc10, v7
	v_or_b32_e32 v5, v9, v5
	v_lshl_or_b32 v8, v7, 12, v4
	v_cmp_gt_i32_e32 vcc, 1, v7
	v_cndmask_b32_e32 v5, v8, v5, vcc
	v_and_b32_e32 v8, 7, v5
	v_cmp_lt_i32_e32 vcc, 5, v8
	v_cmp_eq_u32_e64 s[0:1], 3, v8
	v_lshrrev_b32_e32 v5, 2, v5
	s_or_b64 vcc, s[0:1], vcc
	v_addc_co_u32_e32 v5, vcc, 0, v5, vcc
	v_cmp_gt_i32_e32 vcc, 31, v7
	v_cndmask_b32_e32 v5, v0, v5, vcc
	v_cmp_ne_u32_e32 vcc, 0, v4
	v_cndmask_b32_e64 v4, 0, 1, vcc
	v_lshl_or_b32 v0, v4, 9, v0
	v_cmp_eq_u32_e32 vcc, s10, v7
	v_cndmask_b32_e32 v0, v5, v0, vcc
	v_lshrrev_b32_e32 v4, 16, v6
	v_and_or_b32 v0, v4, s11, v0
	v_and_b32_e32 v3, 0xffff, v3
	v_lshl_or_b32 v3, v0, 16, v3
	v_mov_b32_e32 v4, s2
	v_add_co_u32_e32 v0, vcc, s3, v1
	v_addc_co_u32_e32 v1, vcc, v2, v4, vcc
	global_store_dword v[0:1], v3, off
.LBB0_10:
	s_endpgm
	.section	.rodata,"a",@progbits
	.p2align	6, 0x0
	.amdhsa_kernel bluestein_single_back_len1250_dim1_half_op_CI_CI
		.amdhsa_group_segment_fixed_size 5000
		.amdhsa_private_segment_fixed_size 0
		.amdhsa_kernarg_size 104
		.amdhsa_user_sgpr_count 6
		.amdhsa_user_sgpr_private_segment_buffer 1
		.amdhsa_user_sgpr_dispatch_ptr 0
		.amdhsa_user_sgpr_queue_ptr 0
		.amdhsa_user_sgpr_kernarg_segment_ptr 1
		.amdhsa_user_sgpr_dispatch_id 0
		.amdhsa_user_sgpr_flat_scratch_init 0
		.amdhsa_user_sgpr_private_segment_size 0
		.amdhsa_uses_dynamic_stack 0
		.amdhsa_system_sgpr_private_segment_wavefront_offset 0
		.amdhsa_system_sgpr_workgroup_id_x 1
		.amdhsa_system_sgpr_workgroup_id_y 0
		.amdhsa_system_sgpr_workgroup_id_z 0
		.amdhsa_system_sgpr_workgroup_info 0
		.amdhsa_system_vgpr_workitem_id 0
		.amdhsa_next_free_vgpr 67
		.amdhsa_next_free_sgpr 20
		.amdhsa_reserve_vcc 1
		.amdhsa_reserve_flat_scratch 0
		.amdhsa_float_round_mode_32 0
		.amdhsa_float_round_mode_16_64 0
		.amdhsa_float_denorm_mode_32 3
		.amdhsa_float_denorm_mode_16_64 3
		.amdhsa_dx10_clamp 1
		.amdhsa_ieee_mode 1
		.amdhsa_fp16_overflow 0
		.amdhsa_exception_fp_ieee_invalid_op 0
		.amdhsa_exception_fp_denorm_src 0
		.amdhsa_exception_fp_ieee_div_zero 0
		.amdhsa_exception_fp_ieee_overflow 0
		.amdhsa_exception_fp_ieee_underflow 0
		.amdhsa_exception_fp_ieee_inexact 0
		.amdhsa_exception_int_div_zero 0
	.end_amdhsa_kernel
	.text
.Lfunc_end0:
	.size	bluestein_single_back_len1250_dim1_half_op_CI_CI, .Lfunc_end0-bluestein_single_back_len1250_dim1_half_op_CI_CI
                                        ; -- End function
	.section	.AMDGPU.csdata,"",@progbits
; Kernel info:
; codeLenInByte = 9952
; NumSgprs: 24
; NumVgprs: 67
; ScratchSize: 0
; MemoryBound: 0
; FloatMode: 240
; IeeeMode: 1
; LDSByteSize: 5000 bytes/workgroup (compile time only)
; SGPRBlocks: 2
; VGPRBlocks: 16
; NumSGPRsForWavesPerEU: 24
; NumVGPRsForWavesPerEU: 67
; Occupancy: 3
; WaveLimiterHint : 1
; COMPUTE_PGM_RSRC2:SCRATCH_EN: 0
; COMPUTE_PGM_RSRC2:USER_SGPR: 6
; COMPUTE_PGM_RSRC2:TRAP_HANDLER: 0
; COMPUTE_PGM_RSRC2:TGID_X_EN: 1
; COMPUTE_PGM_RSRC2:TGID_Y_EN: 0
; COMPUTE_PGM_RSRC2:TGID_Z_EN: 0
; COMPUTE_PGM_RSRC2:TIDIG_COMP_CNT: 0
	.type	__hip_cuid_721c042734d15a11,@object ; @__hip_cuid_721c042734d15a11
	.section	.bss,"aw",@nobits
	.globl	__hip_cuid_721c042734d15a11
__hip_cuid_721c042734d15a11:
	.byte	0                               ; 0x0
	.size	__hip_cuid_721c042734d15a11, 1

	.ident	"AMD clang version 19.0.0git (https://github.com/RadeonOpenCompute/llvm-project roc-6.4.0 25133 c7fe45cf4b819c5991fe208aaa96edf142730f1d)"
	.section	".note.GNU-stack","",@progbits
	.addrsig
	.addrsig_sym __hip_cuid_721c042734d15a11
	.amdgpu_metadata
---
amdhsa.kernels:
  - .args:
      - .actual_access:  read_only
        .address_space:  global
        .offset:         0
        .size:           8
        .value_kind:     global_buffer
      - .actual_access:  read_only
        .address_space:  global
        .offset:         8
        .size:           8
        .value_kind:     global_buffer
      - .actual_access:  read_only
        .address_space:  global
        .offset:         16
        .size:           8
        .value_kind:     global_buffer
      - .actual_access:  read_only
        .address_space:  global
        .offset:         24
        .size:           8
        .value_kind:     global_buffer
      - .actual_access:  read_only
        .address_space:  global
        .offset:         32
        .size:           8
        .value_kind:     global_buffer
      - .offset:         40
        .size:           8
        .value_kind:     by_value
      - .address_space:  global
        .offset:         48
        .size:           8
        .value_kind:     global_buffer
      - .address_space:  global
        .offset:         56
        .size:           8
        .value_kind:     global_buffer
      - .address_space:  global
        .offset:         64
        .size:           8
        .value_kind:     global_buffer
      - .address_space:  global
        .offset:         72
        .size:           8
        .value_kind:     global_buffer
      - .offset:         80
        .size:           4
        .value_kind:     by_value
      - .address_space:  global
        .offset:         88
        .size:           8
        .value_kind:     global_buffer
      - .address_space:  global
        .offset:         96
        .size:           8
        .value_kind:     global_buffer
    .group_segment_fixed_size: 5000
    .kernarg_segment_align: 8
    .kernarg_segment_size: 104
    .language:       OpenCL C
    .language_version:
      - 2
      - 0
    .max_flat_workgroup_size: 250
    .name:           bluestein_single_back_len1250_dim1_half_op_CI_CI
    .private_segment_fixed_size: 0
    .sgpr_count:     24
    .sgpr_spill_count: 0
    .symbol:         bluestein_single_back_len1250_dim1_half_op_CI_CI.kd
    .uniform_work_group_size: 1
    .uses_dynamic_stack: false
    .vgpr_count:     67
    .vgpr_spill_count: 0
    .wavefront_size: 64
amdhsa.target:   amdgcn-amd-amdhsa--gfx906
amdhsa.version:
  - 1
  - 2
...

	.end_amdgpu_metadata
